;; amdgpu-corpus repo=zjin-lcf/HeCBench kind=compiled arch=gfx1250 opt=O3
	.amdgcn_target "amdgcn-amd-amdhsa--gfx1250"
	.amdhsa_code_object_version 6
	.text
	.protected	_Z10findRangeKlPK5knodelPlS2_S2_S2_PKiS4_PiS5_ ; -- Begin function _Z10findRangeKlPK5knodelPlS2_S2_S2_PKiS4_PiS5_
	.globl	_Z10findRangeKlPK5knodelPlS2_S2_S2_PKiS4_PiS5_
	.p2align	8
	.type	_Z10findRangeKlPK5knodelPlS2_S2_S2_PKiS4_PiS5_,@function
_Z10findRangeKlPK5knodelPlS2_S2_S2_PKiS4_PiS5_: ; @_Z10findRangeKlPK5knodelPlS2_S2_S2_PKiS4_PiS5_
; %bb.0:
	s_clause 0x1
	s_load_b64 s[8:9], s[0:1], 0x0
	s_load_b64 s[2:3], s[0:1], 0x38
	s_bfe_u32 s4, ttmp6, 0x4000c
	s_and_b32 s6, ttmp6, 15
	s_add_co_i32 s4, s4, 1
	s_getreg_b32 s7, hwreg(HW_REG_IB_STS2, 6, 4)
	s_mul_i32 s4, ttmp9, s4
	s_mov_b32 s16, 0
	s_add_co_i32 s6, s6, s4
	s_cmp_eq_u32 s7, 0
	s_cselect_b32 s4, ttmp9, s6
	s_wait_kmcnt 0x0
	v_cmp_gt_i64_e64 s5, s[8:9], 0
	s_and_b32 vcc_lo, exec_lo, s5
	s_ashr_i32 s5, s4, 31
	s_cbranch_vccnz .LBB0_2
; %bb.1:
	s_lshl_b64 s[6:7], s[4:5], 2
	v_mov_b32_e32 v1, 0
	s_add_nc_u64 s[6:7], s[2:3], s[6:7]
	s_load_b32 s28, s[6:7], 0x0
	s_branch .LBB0_3
.LBB0_2:
	s_mov_b32 s16, -1
                                        ; implicit-def: $sgpr28
.LBB0_3:
	s_wait_xcnt 0x0
	s_clause 0x3
	s_load_b64 s[6:7], s[0:1], 0x40
	s_load_b64 s[10:11], s[0:1], 0x8
	;; [unrolled: 1-line block ×4, first 2 shown]
	s_and_not1_b32 vcc_lo, exec_lo, s16
	s_cbranch_vccnz .LBB0_16
; %bb.4:
	s_lshl_b64 s[18:19], s[4:5], 2
	s_clause 0x2
	s_load_b64 s[20:21], s[0:1], 0x20
	s_load_b64 s[24:25], s[0:1], 0x30
	s_load_b64 s[16:17], s[0:1], 0x10
	s_add_nc_u64 s[22:23], s[2:3], s[18:19]
	s_wait_kmcnt 0x0
	s_add_nc_u64 s[18:19], s[6:7], s[18:19]
	s_load_b32 s28, s[22:23], 0x0
	s_load_b32 s3, s[18:19], 0x0
	v_dual_mov_b32 v1, 0 :: v_dual_lshlrev_b32 v2, 2, v0
	v_cmp_eq_u32_e64 s2, 0, v0
	s_lshl_b64 s[26:27], s[4:5], 3
	v_mov_b32_e32 v3, v1
	s_wait_xcnt 0x0
	s_add_nc_u64 s[18:19], s[14:15], s[26:27]
	s_add_nc_u64 s[22:23], s[12:13], s[26:27]
	s_delay_alu instid0(VALU_DEP_1)
	v_add_nc_u64_e32 v[2:3], s[10:11], v[2:3]
	s_add_nc_u64 s[20:21], s[20:21], s[26:27]
	s_add_nc_u64 s[24:25], s[24:25], s[26:27]
	s_mov_b64 s[26:27], 0
	s_branch .LBB0_6
.LBB0_5:                                ;   in Loop: Header=BB0_6 Depth=1
	s_wait_xcnt 0x0
	s_or_b32 exec_lo, exec_lo, s29
	s_add_nc_u64 s[26:27], s[26:27], 1
	s_wait_storecnt 0x0
	v_cmp_le_u64_e64 s29, s[8:9], s[26:27]
	s_barrier_signal -1
	s_barrier_wait -1
	s_and_b32 vcc_lo, exec_lo, s29
	s_cbranch_vccnz .LBB0_16
.LBB0_6:                                ; =>This Inner Loop Header: Depth=1
	global_load_b64 v[6:7], v1, s[18:19]
	s_mov_b32 s29, exec_lo
	s_wait_loadcnt 0x0
	v_mad_nc_u64_u32 v[4:5], 0x814, v6, v[2:3]
	s_delay_alu instid0(VALU_DEP_1)
	v_mad_u32 v5, 0x814, v7, v5
	global_load_b32 v6, v[4:5], off offset:1032
	s_wait_loadcnt 0x0
	s_wait_kmcnt 0x0
	v_cmpx_ge_i32_e64 s28, v6
	s_cbranch_execz .LBB0_10
; %bb.7:                                ;   in Loop: Header=BB0_6 Depth=1
	global_load_b32 v6, v[4:5], off offset:1036
	s_wait_loadcnt 0x0
	v_cmp_lt_i32_e32 vcc_lo, s28, v6
	s_and_b32 exec_lo, exec_lo, vcc_lo
	s_cbranch_execz .LBB0_10
; %bb.8:                                ;   in Loop: Header=BB0_6 Depth=1
	global_load_b32 v4, v[4:5], off offset:4
	s_wait_loadcnt 0x0
	v_ashrrev_i32_e32 v5, 31, v4
	s_delay_alu instid0(VALU_DEP_1)
	v_cmp_gt_i64_e32 vcc_lo, s[16:17], v[4:5]
	s_and_b32 exec_lo, exec_lo, vcc_lo
	s_cbranch_execz .LBB0_10
; %bb.9:                                ;   in Loop: Header=BB0_6 Depth=1
	global_store_b64 v1, v[4:5], s[20:21]
.LBB0_10:                               ;   in Loop: Header=BB0_6 Depth=1
	s_wait_xcnt 0x0
	s_or_b32 exec_lo, exec_lo, s29
	global_load_b64 v[6:7], v1, s[22:23]
	s_mov_b32 s29, exec_lo
	s_wait_loadcnt 0x0
	v_mad_nc_u64_u32 v[4:5], 0x814, v6, v[2:3]
	s_delay_alu instid0(VALU_DEP_1)
	v_mad_u32 v5, 0x814, v7, v5
	global_load_b32 v6, v[4:5], off offset:1032
	s_wait_loadcnt 0x0
	v_cmpx_ge_i32_e64 s3, v6
	s_cbranch_execz .LBB0_14
; %bb.11:                               ;   in Loop: Header=BB0_6 Depth=1
	global_load_b32 v6, v[4:5], off offset:1036
	s_wait_loadcnt 0x0
	v_cmp_lt_i32_e32 vcc_lo, s3, v6
	s_wait_xcnt 0x0
	s_and_b32 exec_lo, exec_lo, vcc_lo
	s_cbranch_execz .LBB0_14
; %bb.12:                               ;   in Loop: Header=BB0_6 Depth=1
	global_load_b32 v4, v[4:5], off offset:4
	s_wait_loadcnt 0x0
	v_ashrrev_i32_e32 v5, 31, v4
	s_delay_alu instid0(VALU_DEP_1)
	v_cmp_gt_i64_e32 vcc_lo, s[16:17], v[4:5]
	s_and_b32 exec_lo, exec_lo, vcc_lo
	s_cbranch_execz .LBB0_14
; %bb.13:                               ;   in Loop: Header=BB0_6 Depth=1
	global_store_b64 v1, v[4:5], s[24:25]
.LBB0_14:                               ;   in Loop: Header=BB0_6 Depth=1
	s_wait_xcnt 0x0
	s_or_b32 exec_lo, exec_lo, s29
	s_wait_storecnt 0x0
	s_barrier_signal -1
	s_barrier_wait -1
	s_and_saveexec_b32 s29, s2
	s_cbranch_execz .LBB0_5
; %bb.15:                               ;   in Loop: Header=BB0_6 Depth=1
	s_clause 0x1
	global_load_b64 v[4:5], v1, s[20:21]
	global_load_b64 v[6:7], v1, s[24:25]
	s_wait_loadcnt 0x1
	global_store_b64 v1, v[4:5], s[18:19]
	s_wait_loadcnt 0x0
	global_store_b64 v1, v[6:7], s[22:23]
	s_branch .LBB0_5
.LBB0_16:
	v_mov_b32_e32 v4, 0
	s_lshl_b64 s[8:9], s[4:5], 3
	s_wait_xcnt 0x0
	s_load_b128 s[0:3], s[0:1], 0x48
	s_wait_kmcnt 0x0
	s_add_nc_u64 s[14:15], s[14:15], s[8:9]
	global_load_b64 v[2:3], v4, s[14:15]
	s_wait_xcnt 0x0
	s_mov_b32 s14, exec_lo
	s_wait_loadcnt 0x0
	v_mul_u64_e32 v[2:3], 0x814, v[2:3]
	s_delay_alu instid0(VALU_DEP_1) | instskip(NEXT) | instid1(VALU_DEP_1)
	v_add_nc_u64_e32 v[2:3], s[10:11], v[2:3]
	v_lshl_add_u64 v[2:3], v[0:1], 2, v[2:3]
	global_load_b32 v5, v[2:3], off offset:1032
	s_wait_loadcnt 0x0
	v_cmpx_eq_u32_e64 s28, v5
	s_cbranch_execz .LBB0_18
; %bb.17:
	global_load_b32 v2, v[2:3], off offset:4
	s_lshl_b64 s[16:17], s[4:5], 2
	s_delay_alu instid0(SALU_CYCLE_1)
	s_add_nc_u64 s[16:17], s[0:1], s[16:17]
	s_wait_loadcnt 0x0
	global_store_b32 v4, v2, s[16:17]
.LBB0_18:
	s_wait_xcnt 0x0
	s_or_b32 exec_lo, exec_lo, s14
	s_add_nc_u64 s[8:9], s[12:13], s[8:9]
	s_wait_storecnt 0x0
	s_barrier_signal -1
	s_barrier_wait -1
	global_load_b64 v[2:3], v4, s[8:9]
	s_lshl_b64 s[4:5], s[4:5], 2
	s_delay_alu instid0(SALU_CYCLE_1) | instskip(SKIP_3) | instid1(VALU_DEP_1)
	s_add_nc_u64 s[6:7], s[6:7], s[4:5]
	s_load_b32 s6, s[6:7], 0x0
	s_wait_loadcnt 0x0
	v_mul_u64_e32 v[2:3], 0x814, v[2:3]
	v_add_nc_u64_e32 v[2:3], s[10:11], v[2:3]
	s_delay_alu instid0(VALU_DEP_1)
	v_lshl_add_u64 v[0:1], v[0:1], 2, v[2:3]
	global_load_b32 v2, v[0:1], off offset:1032
	s_wait_loadcnt 0x0
	s_wait_kmcnt 0x0
	v_cmp_eq_u32_e32 vcc_lo, s6, v2
	s_and_saveexec_b32 s6, vcc_lo
	s_cbranch_execz .LBB0_20
; %bb.19:
	v_mov_b32_e32 v2, 0
	s_add_nc_u64 s[0:1], s[0:1], s[4:5]
	global_load_b32 v3, v[0:1], off offset:4
	global_load_b32 v4, v2, s[0:1]
	s_wait_xcnt 0x0
	s_add_nc_u64 s[0:1], s[2:3], s[4:5]
	s_wait_loadcnt 0x0
	v_sub_nc_u32_e32 v0, v3, v4
	s_delay_alu instid0(VALU_DEP_1)
	v_add_nc_u32_e32 v0, 1, v0
	global_store_b32 v2, v0, s[0:1]
.LBB0_20:
	s_endpgm
	.section	.rodata,"a",@progbits
	.p2align	6, 0x0
	.amdhsa_kernel _Z10findRangeKlPK5knodelPlS2_S2_S2_PKiS4_PiS5_
		.amdhsa_group_segment_fixed_size 0
		.amdhsa_private_segment_fixed_size 0
		.amdhsa_kernarg_size 88
		.amdhsa_user_sgpr_count 2
		.amdhsa_user_sgpr_dispatch_ptr 0
		.amdhsa_user_sgpr_queue_ptr 0
		.amdhsa_user_sgpr_kernarg_segment_ptr 1
		.amdhsa_user_sgpr_dispatch_id 0
		.amdhsa_user_sgpr_kernarg_preload_length 0
		.amdhsa_user_sgpr_kernarg_preload_offset 0
		.amdhsa_user_sgpr_private_segment_size 0
		.amdhsa_wavefront_size32 1
		.amdhsa_uses_dynamic_stack 0
		.amdhsa_enable_private_segment 0
		.amdhsa_system_sgpr_workgroup_id_x 1
		.amdhsa_system_sgpr_workgroup_id_y 0
		.amdhsa_system_sgpr_workgroup_id_z 0
		.amdhsa_system_sgpr_workgroup_info 0
		.amdhsa_system_vgpr_workitem_id 0
		.amdhsa_next_free_vgpr 8
		.amdhsa_next_free_sgpr 30
		.amdhsa_named_barrier_count 0
		.amdhsa_reserve_vcc 1
		.amdhsa_float_round_mode_32 0
		.amdhsa_float_round_mode_16_64 0
		.amdhsa_float_denorm_mode_32 3
		.amdhsa_float_denorm_mode_16_64 3
		.amdhsa_fp16_overflow 0
		.amdhsa_memory_ordered 1
		.amdhsa_forward_progress 1
		.amdhsa_inst_pref_size 9
		.amdhsa_round_robin_scheduling 0
		.amdhsa_exception_fp_ieee_invalid_op 0
		.amdhsa_exception_fp_denorm_src 0
		.amdhsa_exception_fp_ieee_div_zero 0
		.amdhsa_exception_fp_ieee_overflow 0
		.amdhsa_exception_fp_ieee_underflow 0
		.amdhsa_exception_fp_ieee_inexact 0
		.amdhsa_exception_int_div_zero 0
	.end_amdhsa_kernel
	.text
.Lfunc_end0:
	.size	_Z10findRangeKlPK5knodelPlS2_S2_S2_PKiS4_PiS5_, .Lfunc_end0-_Z10findRangeKlPK5knodelPlS2_S2_S2_PKiS4_PiS5_
                                        ; -- End function
	.set _Z10findRangeKlPK5knodelPlS2_S2_S2_PKiS4_PiS5_.num_vgpr, 8
	.set _Z10findRangeKlPK5knodelPlS2_S2_S2_PKiS4_PiS5_.num_agpr, 0
	.set _Z10findRangeKlPK5knodelPlS2_S2_S2_PKiS4_PiS5_.numbered_sgpr, 30
	.set _Z10findRangeKlPK5knodelPlS2_S2_S2_PKiS4_PiS5_.num_named_barrier, 0
	.set _Z10findRangeKlPK5knodelPlS2_S2_S2_PKiS4_PiS5_.private_seg_size, 0
	.set _Z10findRangeKlPK5knodelPlS2_S2_S2_PKiS4_PiS5_.uses_vcc, 1
	.set _Z10findRangeKlPK5knodelPlS2_S2_S2_PKiS4_PiS5_.uses_flat_scratch, 0
	.set _Z10findRangeKlPK5knodelPlS2_S2_S2_PKiS4_PiS5_.has_dyn_sized_stack, 0
	.set _Z10findRangeKlPK5knodelPlS2_S2_S2_PKiS4_PiS5_.has_recursion, 0
	.set _Z10findRangeKlPK5knodelPlS2_S2_S2_PKiS4_PiS5_.has_indirect_call, 0
	.section	.AMDGPU.csdata,"",@progbits
; Kernel info:
; codeLenInByte = 1064
; TotalNumSgprs: 32
; NumVgprs: 8
; ScratchSize: 0
; MemoryBound: 1
; FloatMode: 240
; IeeeMode: 1
; LDSByteSize: 0 bytes/workgroup (compile time only)
; SGPRBlocks: 0
; VGPRBlocks: 0
; NumSGPRsForWavesPerEU: 32
; NumVGPRsForWavesPerEU: 8
; NamedBarCnt: 0
; Occupancy: 16
; WaveLimiterHint : 1
; COMPUTE_PGM_RSRC2:SCRATCH_EN: 0
; COMPUTE_PGM_RSRC2:USER_SGPR: 2
; COMPUTE_PGM_RSRC2:TRAP_HANDLER: 0
; COMPUTE_PGM_RSRC2:TGID_X_EN: 1
; COMPUTE_PGM_RSRC2:TGID_Y_EN: 0
; COMPUTE_PGM_RSRC2:TGID_Z_EN: 0
; COMPUTE_PGM_RSRC2:TIDIG_COMP_CNT: 0
	.text
	.p2alignl 7, 3214868480
	.fill 96, 4, 3214868480
	.section	.AMDGPU.gpr_maximums,"",@progbits
	.set amdgpu.max_num_vgpr, 0
	.set amdgpu.max_num_agpr, 0
	.set amdgpu.max_num_sgpr, 0
	.text
	.type	__hip_cuid_d7de2dfcea0152de,@object ; @__hip_cuid_d7de2dfcea0152de
	.section	.bss,"aw",@nobits
	.globl	__hip_cuid_d7de2dfcea0152de
__hip_cuid_d7de2dfcea0152de:
	.byte	0                               ; 0x0
	.size	__hip_cuid_d7de2dfcea0152de, 1

	.ident	"AMD clang version 22.0.0git (https://github.com/RadeonOpenCompute/llvm-project roc-7.2.4 26084 f58b06dce1f9c15707c5f808fd002e18c2accf7e)"
	.section	".note.GNU-stack","",@progbits
	.addrsig
	.addrsig_sym __hip_cuid_d7de2dfcea0152de
	.amdgpu_metadata
---
amdhsa.kernels:
  - .args:
      - .offset:         0
        .size:           8
        .value_kind:     by_value
      - .actual_access:  read_only
        .address_space:  global
        .offset:         8
        .size:           8
        .value_kind:     global_buffer
      - .offset:         16
        .size:           8
        .value_kind:     by_value
      - .address_space:  global
        .offset:         24
        .size:           8
        .value_kind:     global_buffer
      - .address_space:  global
        .offset:         32
        .size:           8
        .value_kind:     global_buffer
      - .address_space:  global
        .offset:         40
        .size:           8
        .value_kind:     global_buffer
      - .address_space:  global
        .offset:         48
        .size:           8
        .value_kind:     global_buffer
      - .actual_access:  read_only
        .address_space:  global
        .offset:         56
        .size:           8
        .value_kind:     global_buffer
      - .actual_access:  read_only
        .address_space:  global
        .offset:         64
        .size:           8
        .value_kind:     global_buffer
      - .address_space:  global
        .offset:         72
        .size:           8
        .value_kind:     global_buffer
      - .actual_access:  write_only
        .address_space:  global
        .offset:         80
        .size:           8
        .value_kind:     global_buffer
    .group_segment_fixed_size: 0
    .kernarg_segment_align: 8
    .kernarg_segment_size: 88
    .language:       OpenCL C
    .language_version:
      - 2
      - 0
    .max_flat_workgroup_size: 1024
    .name:           _Z10findRangeKlPK5knodelPlS2_S2_S2_PKiS4_PiS5_
    .private_segment_fixed_size: 0
    .sgpr_count:     32
    .sgpr_spill_count: 0
    .symbol:         _Z10findRangeKlPK5knodelPlS2_S2_S2_PKiS4_PiS5_.kd
    .uniform_work_group_size: 1
    .uses_dynamic_stack: false
    .vgpr_count:     8
    .vgpr_spill_count: 0
    .wavefront_size: 32
amdhsa.target:   amdgcn-amd-amdhsa--gfx1250
amdhsa.version:
  - 1
  - 2
...

	.end_amdgpu_metadata
